;; amdgpu-corpus repo=ROCm/rocFFT kind=compiled arch=gfx906 opt=O3
	.text
	.amdgcn_target "amdgcn-amd-amdhsa--gfx906"
	.amdhsa_code_object_version 6
	.protected	fft_rtc_back_len26_factors_13_2_wgs_64_tpt_2_halfLds_dp_op_CI_CI_unitstride_sbrr_C2R_dirReg ; -- Begin function fft_rtc_back_len26_factors_13_2_wgs_64_tpt_2_halfLds_dp_op_CI_CI_unitstride_sbrr_C2R_dirReg
	.globl	fft_rtc_back_len26_factors_13_2_wgs_64_tpt_2_halfLds_dp_op_CI_CI_unitstride_sbrr_C2R_dirReg
	.p2align	8
	.type	fft_rtc_back_len26_factors_13_2_wgs_64_tpt_2_halfLds_dp_op_CI_CI_unitstride_sbrr_C2R_dirReg,@function
fft_rtc_back_len26_factors_13_2_wgs_64_tpt_2_halfLds_dp_op_CI_CI_unitstride_sbrr_C2R_dirReg: ; @fft_rtc_back_len26_factors_13_2_wgs_64_tpt_2_halfLds_dp_op_CI_CI_unitstride_sbrr_C2R_dirReg
; %bb.0:
	s_load_dwordx4 s[8:11], s[4:5], 0x58
	s_load_dwordx4 s[12:15], s[4:5], 0x0
	;; [unrolled: 1-line block ×3, first 2 shown]
	v_lshrrev_b32_e32 v7, 1, v0
	v_mov_b32_e32 v3, 0
	v_mov_b32_e32 v1, 0
	s_waitcnt lgkmcnt(0)
	v_cmp_lt_u64_e64 s[0:1], s[14:15], 2
	v_lshl_or_b32 v5, s6, 5, v7
	v_mov_b32_e32 v6, v3
	s_and_b64 vcc, exec, s[0:1]
	v_mov_b32_e32 v2, 0
	s_cbranch_vccnz .LBB0_8
; %bb.1:
	s_load_dwordx2 s[0:1], s[4:5], 0x10
	s_add_u32 s2, s18, 8
	s_addc_u32 s3, s19, 0
	s_add_u32 s6, s16, 8
	v_mov_b32_e32 v1, 0
	s_addc_u32 s7, s17, 0
	v_mov_b32_e32 v2, 0
	s_waitcnt lgkmcnt(0)
	s_add_u32 s20, s0, 8
	v_mov_b32_e32 v57, v2
	s_addc_u32 s21, s1, 0
	s_mov_b64 s[22:23], 1
	v_mov_b32_e32 v56, v1
.LBB0_2:                                ; =>This Inner Loop Header: Depth=1
	s_load_dwordx2 s[24:25], s[20:21], 0x0
                                        ; implicit-def: $vgpr58_vgpr59
	s_waitcnt lgkmcnt(0)
	v_or_b32_e32 v4, s25, v6
	v_cmp_ne_u64_e32 vcc, 0, v[3:4]
	s_and_saveexec_b64 s[0:1], vcc
	s_xor_b64 s[26:27], exec, s[0:1]
	s_cbranch_execz .LBB0_4
; %bb.3:                                ;   in Loop: Header=BB0_2 Depth=1
	v_cvt_f32_u32_e32 v4, s24
	v_cvt_f32_u32_e32 v8, s25
	s_sub_u32 s0, 0, s24
	s_subb_u32 s1, 0, s25
	v_mac_f32_e32 v4, 0x4f800000, v8
	v_rcp_f32_e32 v4, v4
	v_mul_f32_e32 v4, 0x5f7ffffc, v4
	v_mul_f32_e32 v8, 0x2f800000, v4
	v_trunc_f32_e32 v8, v8
	v_mac_f32_e32 v4, 0xcf800000, v8
	v_cvt_u32_f32_e32 v8, v8
	v_cvt_u32_f32_e32 v4, v4
	v_mul_lo_u32 v9, s0, v8
	v_mul_hi_u32 v10, s0, v4
	v_mul_lo_u32 v12, s1, v4
	v_mul_lo_u32 v11, s0, v4
	v_add_u32_e32 v9, v10, v9
	v_add_u32_e32 v9, v9, v12
	v_mul_hi_u32 v10, v4, v11
	v_mul_lo_u32 v12, v4, v9
	v_mul_hi_u32 v14, v4, v9
	v_mul_hi_u32 v13, v8, v11
	v_mul_lo_u32 v11, v8, v11
	v_mul_hi_u32 v15, v8, v9
	v_add_co_u32_e32 v10, vcc, v10, v12
	v_addc_co_u32_e32 v12, vcc, 0, v14, vcc
	v_mul_lo_u32 v9, v8, v9
	v_add_co_u32_e32 v10, vcc, v10, v11
	v_addc_co_u32_e32 v10, vcc, v12, v13, vcc
	v_addc_co_u32_e32 v11, vcc, 0, v15, vcc
	v_add_co_u32_e32 v9, vcc, v10, v9
	v_addc_co_u32_e32 v10, vcc, 0, v11, vcc
	v_add_co_u32_e32 v4, vcc, v4, v9
	v_addc_co_u32_e32 v8, vcc, v8, v10, vcc
	v_mul_lo_u32 v9, s0, v8
	v_mul_hi_u32 v10, s0, v4
	v_mul_lo_u32 v11, s1, v4
	v_mul_lo_u32 v12, s0, v4
	v_add_u32_e32 v9, v10, v9
	v_add_u32_e32 v9, v9, v11
	v_mul_lo_u32 v13, v4, v9
	v_mul_hi_u32 v14, v4, v12
	v_mul_hi_u32 v15, v4, v9
	v_mul_hi_u32 v11, v8, v12
	v_mul_lo_u32 v12, v8, v12
	v_mul_hi_u32 v10, v8, v9
	v_add_co_u32_e32 v13, vcc, v14, v13
	v_addc_co_u32_e32 v14, vcc, 0, v15, vcc
	v_mul_lo_u32 v9, v8, v9
	v_add_co_u32_e32 v12, vcc, v13, v12
	v_addc_co_u32_e32 v11, vcc, v14, v11, vcc
	v_addc_co_u32_e32 v10, vcc, 0, v10, vcc
	v_add_co_u32_e32 v9, vcc, v11, v9
	v_addc_co_u32_e32 v10, vcc, 0, v10, vcc
	v_add_co_u32_e32 v4, vcc, v4, v9
	v_addc_co_u32_e32 v10, vcc, v8, v10, vcc
	v_mad_u64_u32 v[8:9], s[0:1], v5, v10, 0
	v_mul_hi_u32 v11, v5, v4
	v_add_co_u32_e32 v12, vcc, v11, v8
	v_addc_co_u32_e32 v13, vcc, 0, v9, vcc
	v_mad_u64_u32 v[8:9], s[0:1], v6, v4, 0
	v_mad_u64_u32 v[10:11], s[0:1], v6, v10, 0
	v_add_co_u32_e32 v4, vcc, v12, v8
	v_addc_co_u32_e32 v4, vcc, v13, v9, vcc
	v_addc_co_u32_e32 v8, vcc, 0, v11, vcc
	v_add_co_u32_e32 v4, vcc, v4, v10
	v_addc_co_u32_e32 v10, vcc, 0, v8, vcc
	v_mul_lo_u32 v11, s25, v4
	v_mul_lo_u32 v12, s24, v10
	v_mad_u64_u32 v[8:9], s[0:1], s24, v4, 0
	v_add3_u32 v9, v9, v12, v11
	v_sub_u32_e32 v11, v6, v9
	v_mov_b32_e32 v12, s25
	v_sub_co_u32_e32 v8, vcc, v5, v8
	v_subb_co_u32_e64 v11, s[0:1], v11, v12, vcc
	v_subrev_co_u32_e64 v12, s[0:1], s24, v8
	v_subbrev_co_u32_e64 v11, s[0:1], 0, v11, s[0:1]
	v_cmp_le_u32_e64 s[0:1], s25, v11
	v_cndmask_b32_e64 v13, 0, -1, s[0:1]
	v_cmp_le_u32_e64 s[0:1], s24, v12
	v_cndmask_b32_e64 v12, 0, -1, s[0:1]
	v_cmp_eq_u32_e64 s[0:1], s25, v11
	v_cndmask_b32_e64 v11, v13, v12, s[0:1]
	v_add_co_u32_e64 v12, s[0:1], 2, v4
	v_addc_co_u32_e64 v13, s[0:1], 0, v10, s[0:1]
	v_add_co_u32_e64 v14, s[0:1], 1, v4
	v_addc_co_u32_e64 v15, s[0:1], 0, v10, s[0:1]
	v_subb_co_u32_e32 v9, vcc, v6, v9, vcc
	v_cmp_ne_u32_e64 s[0:1], 0, v11
	v_cmp_le_u32_e32 vcc, s25, v9
	v_cndmask_b32_e64 v11, v15, v13, s[0:1]
	v_cndmask_b32_e64 v13, 0, -1, vcc
	v_cmp_le_u32_e32 vcc, s24, v8
	v_cndmask_b32_e64 v8, 0, -1, vcc
	v_cmp_eq_u32_e32 vcc, s25, v9
	v_cndmask_b32_e32 v8, v13, v8, vcc
	v_cmp_ne_u32_e32 vcc, 0, v8
	v_cndmask_b32_e64 v8, v14, v12, s[0:1]
	v_cndmask_b32_e32 v59, v10, v11, vcc
	v_cndmask_b32_e32 v58, v4, v8, vcc
.LBB0_4:                                ;   in Loop: Header=BB0_2 Depth=1
	s_andn2_saveexec_b64 s[0:1], s[26:27]
	s_cbranch_execz .LBB0_6
; %bb.5:                                ;   in Loop: Header=BB0_2 Depth=1
	v_cvt_f32_u32_e32 v4, s24
	s_sub_i32 s26, 0, s24
	v_mov_b32_e32 v59, v3
	v_rcp_iflag_f32_e32 v4, v4
	v_mul_f32_e32 v4, 0x4f7ffffe, v4
	v_cvt_u32_f32_e32 v4, v4
	v_mul_lo_u32 v8, s26, v4
	v_mul_hi_u32 v8, v4, v8
	v_add_u32_e32 v4, v4, v8
	v_mul_hi_u32 v4, v5, v4
	v_mul_lo_u32 v8, v4, s24
	v_add_u32_e32 v9, 1, v4
	v_sub_u32_e32 v8, v5, v8
	v_subrev_u32_e32 v10, s24, v8
	v_cmp_le_u32_e32 vcc, s24, v8
	v_cndmask_b32_e32 v8, v8, v10, vcc
	v_cndmask_b32_e32 v4, v4, v9, vcc
	v_add_u32_e32 v9, 1, v4
	v_cmp_le_u32_e32 vcc, s24, v8
	v_cndmask_b32_e32 v58, v4, v9, vcc
.LBB0_6:                                ;   in Loop: Header=BB0_2 Depth=1
	s_or_b64 exec, exec, s[0:1]
	v_mul_lo_u32 v4, v59, s24
	v_mul_lo_u32 v10, v58, s25
	v_mad_u64_u32 v[8:9], s[0:1], v58, s24, 0
	s_load_dwordx2 s[0:1], s[6:7], 0x0
	s_load_dwordx2 s[24:25], s[2:3], 0x0
	v_add3_u32 v4, v9, v10, v4
	v_sub_co_u32_e32 v5, vcc, v5, v8
	v_subb_co_u32_e32 v4, vcc, v6, v4, vcc
	s_waitcnt lgkmcnt(0)
	v_mul_lo_u32 v6, s0, v4
	v_mul_lo_u32 v8, s1, v5
	v_mad_u64_u32 v[1:2], s[0:1], s0, v5, v[1:2]
	v_mul_lo_u32 v4, s24, v4
	v_mul_lo_u32 v9, s25, v5
	v_mad_u64_u32 v[56:57], s[0:1], s24, v5, v[56:57]
	s_add_u32 s22, s22, 1
	s_addc_u32 s23, s23, 0
	s_add_u32 s2, s2, 8
	v_add3_u32 v57, v9, v57, v4
	s_addc_u32 s3, s3, 0
	v_mov_b32_e32 v4, s14
	s_add_u32 s6, s6, 8
	v_mov_b32_e32 v5, s15
	s_addc_u32 s7, s7, 0
	v_cmp_ge_u64_e32 vcc, s[22:23], v[4:5]
	s_add_u32 s20, s20, 8
	v_add3_u32 v2, v8, v2, v6
	s_addc_u32 s21, s21, 0
	s_cbranch_vccnz .LBB0_9
; %bb.7:                                ;   in Loop: Header=BB0_2 Depth=1
	v_mov_b32_e32 v5, v58
	v_mov_b32_e32 v6, v59
	s_branch .LBB0_2
.LBB0_8:
	v_mov_b32_e32 v57, v2
	v_mov_b32_e32 v59, v6
	;; [unrolled: 1-line block ×4, first 2 shown]
.LBB0_9:
	s_load_dwordx2 s[0:1], s[4:5], 0x28
	s_lshl_b64 s[6:7], s[14:15], 3
	s_add_u32 s4, s18, s6
	s_addc_u32 s5, s19, s7
	v_and_b32_e32 v36, 1, v0
	s_waitcnt lgkmcnt(0)
	v_cmp_gt_u64_e32 vcc, s[0:1], v[58:59]
	v_cmp_le_u64_e64 s[0:1], s[0:1], v[58:59]
                                        ; implicit-def: $vgpr4_vgpr5
	s_and_saveexec_b64 s[2:3], s[0:1]
	s_xor_b64 s[0:1], exec, s[2:3]
; %bb.10:
	v_mov_b32_e32 v37, 0
	v_mov_b32_e32 v4, v36
	;; [unrolled: 1-line block ×3, first 2 shown]
                                        ; implicit-def: $vgpr1_vgpr2
; %bb.11:
	s_or_saveexec_b64 s[2:3], s[0:1]
	s_load_dwordx2 s[4:5], s[4:5], 0x0
	v_mul_u32_u24_e32 v80, 27, v7
	v_lshlrev_b32_e32 v55, 4, v80
                                        ; implicit-def: $vgpr60
	s_xor_b64 exec, exec, s[2:3]
	s_cbranch_execz .LBB0_15
; %bb.12:
	s_add_u32 s0, s16, s6
	s_addc_u32 s1, s17, s7
	s_load_dwordx2 s[0:1], s[0:1], 0x0
	v_lshlrev_b64 v[0:1], 4, v[1:2]
	v_mov_b32_e32 v7, s9
	v_mov_b32_e32 v60, 0
	s_waitcnt lgkmcnt(0)
	v_mul_lo_u32 v5, s1, v58
	v_mul_lo_u32 v6, s0, v59
	v_mad_u64_u32 v[3:4], s[0:1], s0, v58, 0
	v_add3_u32 v4, v4, v6, v5
	v_lshlrev_b64 v[2:3], 4, v[3:4]
	v_mov_b32_e32 v4, 0
	v_add_co_u32_e64 v2, s[0:1], s8, v2
	v_addc_co_u32_e64 v3, s[0:1], v7, v3, s[0:1]
	v_add_co_u32_e64 v0, s[0:1], v2, v0
	v_addc_co_u32_e64 v1, s[0:1], v3, v1, s[0:1]
	v_lshlrev_b32_e32 v2, 4, v36
	v_add_co_u32_e64 v0, s[0:1], v0, v2
	v_addc_co_u32_e64 v1, s[0:1], 0, v1, s[0:1]
	global_load_dwordx4 v[6:9], v[0:1], off
	global_load_dwordx4 v[10:13], v[0:1], off offset:32
	global_load_dwordx4 v[14:17], v[0:1], off offset:64
	;; [unrolled: 1-line block ×12, first 2 shown]
	v_mov_b32_e32 v5, 0
	v_add3_u32 v2, 0, v55, v2
	v_cmp_eq_u32_e64 s[0:1], 1, v36
	s_waitcnt vmcnt(12)
	ds_write_b128 v2, v[6:9]
	s_waitcnt vmcnt(11)
	ds_write_b128 v2, v[10:13] offset:32
	s_waitcnt vmcnt(10)
	ds_write_b128 v2, v[14:17] offset:64
	;; [unrolled: 2-line block ×12, first 2 shown]
	s_and_saveexec_b64 s[6:7], s[0:1]
	s_cbranch_execz .LBB0_14
; %bb.13:
	global_load_dwordx4 v[3:6], v[0:1], off offset:400
	v_mov_b32_e32 v37, v60
	v_mov_b32_e32 v60, 1
	s_waitcnt vmcnt(0)
	ds_write_b128 v2, v[3:6] offset:400
	v_mov_b32_e32 v4, v36
	v_mov_b32_e32 v5, v37
.LBB0_14:
	s_or_b64 exec, exec, s[6:7]
	v_mov_b32_e32 v36, v60
.LBB0_15:
	s_or_b64 exec, exec, s[2:3]
	v_lshl_add_u32 v79, v80, 4, 0
	v_lshlrev_b32_e32 v0, 4, v36
	v_add_u32_e32 v81, v79, v0
	s_waitcnt lgkmcnt(0)
	; wave barrier
	s_waitcnt lgkmcnt(0)
	v_sub_u32_e32 v10, v79, v0
	ds_read_b64 v[6:7], v81
	ds_read_b64 v[8:9], v10 offset:416
	v_lshlrev_b64 v[61:62], 4, v[4:5]
	v_cmp_eq_u32_e64 s[0:1], 0, v36
	v_cmp_ne_u32_e64 s[2:3], 0, v36
	s_waitcnt lgkmcnt(0)
	v_add_f64 v[0:1], v[6:7], v[8:9]
	v_add_f64 v[2:3], v[6:7], -v[8:9]
	s_and_saveexec_b64 s[6:7], s[2:3]
	s_xor_b64 s[6:7], exec, s[6:7]
	s_cbranch_execz .LBB0_17
; %bb.16:
	v_mov_b32_e32 v1, s13
	v_add_co_u32_e64 v0, s[2:3], s12, v61
	v_addc_co_u32_e64 v1, s[2:3], v1, v62, s[2:3]
	global_load_dwordx4 v[2:5], v[0:1], off offset:208
	ds_read_b64 v[0:1], v10 offset:424
	ds_read_b64 v[11:12], v81 offset:8
	v_add_f64 v[13:14], v[6:7], v[8:9]
	v_add_f64 v[8:9], v[6:7], -v[8:9]
	s_waitcnt lgkmcnt(0)
	v_add_f64 v[15:16], v[0:1], v[11:12]
	v_add_f64 v[0:1], v[11:12], -v[0:1]
	s_waitcnt vmcnt(0)
	v_fma_f64 v[6:7], -v[8:9], v[4:5], v[13:14]
	v_fma_f64 v[11:12], v[15:16], v[4:5], -v[0:1]
	v_fma_f64 v[13:14], v[8:9], v[4:5], v[13:14]
	v_fma_f64 v[17:18], v[15:16], v[4:5], v[0:1]
	;; [unrolled: 1-line block ×4, first 2 shown]
	v_fma_f64 v[0:1], -v[15:16], v[2:3], v[13:14]
	v_fma_f64 v[2:3], v[8:9], v[2:3], v[17:18]
	ds_write_b128 v10, v[4:7] offset:416
.LBB0_17:
	s_andn2_saveexec_b64 s[2:3], s[6:7]
	s_cbranch_execz .LBB0_19
; %bb.18:
	ds_read_b128 v[4:7], v79 offset:208
	s_waitcnt lgkmcnt(0)
	v_add_f64 v[4:5], v[4:5], v[4:5]
	v_mul_f64 v[6:7], v[6:7], -2.0
	ds_write_b128 v79, v[4:7] offset:208
.LBB0_19:
	s_or_b64 exec, exec, s[2:3]
	v_mov_b32_e32 v37, 0
	s_add_u32 s2, s12, 0xd0
	v_lshlrev_b64 v[63:64], 4, v[36:37]
	s_addc_u32 s3, s13, 0
	v_mov_b32_e32 v4, s3
	v_add_co_u32_e64 v23, s[2:3], s2, v63
	v_addc_co_u32_e64 v24, s[2:3], v4, v64, s[2:3]
	global_load_dwordx4 v[4:7], v[23:24], off offset:32
	global_load_dwordx4 v[11:14], v[23:24], off offset:64
	ds_write_b128 v81, v[0:3]
	ds_read_b128 v[0:3], v81 offset:32
	ds_read_b128 v[15:18], v10 offset:384
	global_load_dwordx4 v[19:22], v[23:24], off offset:96
	s_waitcnt lgkmcnt(0)
	v_add_f64 v[8:9], v[0:1], v[15:16]
	v_add_f64 v[25:26], v[17:18], v[2:3]
	v_add_f64 v[15:16], v[0:1], -v[15:16]
	v_add_f64 v[0:1], v[2:3], -v[17:18]
	s_waitcnt vmcnt(2)
	v_fma_f64 v[2:3], v[15:16], v[6:7], v[8:9]
	v_fma_f64 v[17:18], v[25:26], v[6:7], v[0:1]
	v_fma_f64 v[8:9], -v[15:16], v[6:7], v[8:9]
	v_fma_f64 v[27:28], v[25:26], v[6:7], -v[0:1]
	v_fma_f64 v[0:1], -v[25:26], v[4:5], v[2:3]
	v_fma_f64 v[2:3], v[15:16], v[4:5], v[17:18]
	v_fma_f64 v[6:7], v[25:26], v[4:5], v[8:9]
	v_fma_f64 v[8:9], v[15:16], v[4:5], v[27:28]
	ds_write_b128 v81, v[0:3] offset:32
	ds_write_b128 v10, v[6:9] offset:384
	ds_read_b128 v[0:3], v81 offset:64
	ds_read_b128 v[4:7], v10 offset:352
	global_load_dwordx4 v[15:18], v[23:24], off offset:128
	s_waitcnt lgkmcnt(0)
	v_add_f64 v[8:9], v[0:1], v[4:5]
	v_add_f64 v[25:26], v[6:7], v[2:3]
	v_add_f64 v[27:28], v[0:1], -v[4:5]
	v_add_f64 v[0:1], v[2:3], -v[6:7]
	s_waitcnt vmcnt(2)
	v_fma_f64 v[2:3], v[27:28], v[13:14], v[8:9]
	v_fma_f64 v[4:5], v[25:26], v[13:14], v[0:1]
	v_fma_f64 v[6:7], -v[27:28], v[13:14], v[8:9]
	v_fma_f64 v[8:9], v[25:26], v[13:14], -v[0:1]
	v_fma_f64 v[0:1], -v[25:26], v[11:12], v[2:3]
	v_fma_f64 v[2:3], v[27:28], v[11:12], v[4:5]
	v_fma_f64 v[4:5], v[25:26], v[11:12], v[6:7]
	v_fma_f64 v[6:7], v[27:28], v[11:12], v[8:9]
	ds_write_b128 v81, v[0:3] offset:64
	ds_write_b128 v10, v[4:7] offset:352
	;; [unrolled: 19-line block ×3, first 2 shown]
	ds_read_b128 v[0:3], v81 offset:128
	ds_read_b128 v[4:7], v10 offset:288
	s_waitcnt lgkmcnt(0)
	v_add_f64 v[8:9], v[0:1], v[4:5]
	v_add_f64 v[19:20], v[6:7], v[2:3]
	v_add_f64 v[21:22], v[0:1], -v[4:5]
	v_add_f64 v[0:1], v[2:3], -v[6:7]
	s_waitcnt vmcnt(1)
	v_fma_f64 v[2:3], v[21:22], v[17:18], v[8:9]
	v_fma_f64 v[4:5], v[19:20], v[17:18], v[0:1]
	v_fma_f64 v[6:7], -v[21:22], v[17:18], v[8:9]
	v_fma_f64 v[8:9], v[19:20], v[17:18], -v[0:1]
	v_fma_f64 v[0:1], -v[19:20], v[15:16], v[2:3]
	v_fma_f64 v[2:3], v[21:22], v[15:16], v[4:5]
	v_fma_f64 v[4:5], v[19:20], v[15:16], v[6:7]
	v_fma_f64 v[6:7], v[21:22], v[15:16], v[8:9]
	ds_write_b128 v81, v[0:3] offset:128
	ds_write_b128 v10, v[4:7] offset:288
	ds_read_b128 v[0:3], v81 offset:160
	ds_read_b128 v[4:7], v10 offset:256
	s_waitcnt lgkmcnt(0)
	v_add_f64 v[8:9], v[0:1], v[4:5]
	v_add_f64 v[15:16], v[6:7], v[2:3]
	v_add_f64 v[17:18], v[0:1], -v[4:5]
	v_add_f64 v[0:1], v[2:3], -v[6:7]
	s_waitcnt vmcnt(0)
	v_fma_f64 v[2:3], v[17:18], v[13:14], v[8:9]
	v_fma_f64 v[4:5], v[15:16], v[13:14], v[0:1]
	v_fma_f64 v[6:7], -v[17:18], v[13:14], v[8:9]
	v_fma_f64 v[8:9], v[15:16], v[13:14], -v[0:1]
	v_fma_f64 v[0:1], -v[15:16], v[11:12], v[2:3]
	v_fma_f64 v[2:3], v[17:18], v[11:12], v[4:5]
	v_fma_f64 v[4:5], v[15:16], v[11:12], v[6:7]
	;; [unrolled: 1-line block ×3, first 2 shown]
	ds_write_b128 v81, v[0:3] offset:160
	ds_write_b128 v10, v[4:7] offset:256
	s_and_saveexec_b64 s[2:3], s[0:1]
	s_cbranch_execz .LBB0_21
; %bb.20:
	ds_read_b128 v[0:3], v79 offset:192
	ds_read_b128 v[4:7], v79 offset:224
	s_load_dwordx4 s[16:19], s[12:13], 0x190
	s_waitcnt lgkmcnt(0)
	v_add_f64 v[8:9], v[0:1], v[4:5]
	v_add_f64 v[10:11], v[6:7], v[2:3]
	v_add_f64 v[12:13], v[0:1], -v[4:5]
	v_add_f64 v[0:1], v[2:3], -v[6:7]
	v_fma_f64 v[2:3], v[12:13], s[18:19], v[8:9]
	v_fma_f64 v[4:5], v[10:11], s[18:19], v[0:1]
	v_fma_f64 v[6:7], -v[12:13], s[18:19], v[8:9]
	v_fma_f64 v[8:9], v[10:11], s[18:19], -v[0:1]
	v_fma_f64 v[0:1], -v[10:11], s[16:17], v[2:3]
	v_fma_f64 v[2:3], v[12:13], s[16:17], v[4:5]
	v_fma_f64 v[4:5], v[10:11], s[16:17], v[6:7]
	v_fma_f64 v[6:7], v[12:13], s[16:17], v[8:9]
	ds_write_b128 v79, v[0:3] offset:192
	ds_write_b128 v79, v[4:7] offset:224
.LBB0_21:
	s_or_b64 exec, exec, s[2:3]
	s_waitcnt lgkmcnt(0)
	; wave barrier
	s_waitcnt lgkmcnt(0)
	s_waitcnt lgkmcnt(0)
	; wave barrier
	s_waitcnt lgkmcnt(0)
	ds_read_b128 v[37:40], v81
	v_lshl_add_u32 v83, v36, 4, 0
	v_add_u32_e32 v82, v83, v55
	ds_read_b128 v[41:44], v82 offset:32
	ds_read_b128 v[45:48], v82 offset:64
	;; [unrolled: 1-line block ×12, first 2 shown]
	s_mov_b32 s26, 0x4267c47c
	s_waitcnt lgkmcnt(11)
	v_add_f64 v[0:1], v[37:38], v[41:42]
	v_add_f64 v[2:3], v[39:40], v[43:44]
	s_mov_b32 s20, 0x42a4c3d2
	s_waitcnt lgkmcnt(0)
	v_add_f64 v[69:70], v[43:44], v[67:68]
	v_add_f64 v[43:44], v[43:44], -v[67:68]
	s_mov_b32 s8, 0x66966769
	s_mov_b32 s18, 0x2ef20147
	;; [unrolled: 1-line block ×3, first 2 shown]
	v_add_f64 v[0:1], v[0:1], v[45:46]
	v_add_f64 v[2:3], v[2:3], v[47:48]
	s_mov_b32 s40, 0x4bc48dbf
	s_mov_b32 s27, 0xbfddbe06
	;; [unrolled: 1-line block ×6, first 2 shown]
	v_add_f64 v[0:1], v[0:1], v[28:29]
	v_add_f64 v[2:3], v[2:3], v[30:31]
	s_mov_b32 s41, 0xbfcea1e5
	v_add_f64 v[53:54], v[41:42], v[65:66]
	v_add_f64 v[41:42], v[41:42], -v[65:66]
	v_mul_f64 v[75:76], v[43:44], s[20:21]
	v_mul_f64 v[88:89], v[43:44], s[8:9]
	;; [unrolled: 1-line block ×3, first 2 shown]
	v_add_f64 v[0:1], v[0:1], v[20:21]
	v_add_f64 v[2:3], v[2:3], v[22:23]
	v_mul_f64 v[104:105], v[43:44], s[34:35]
	s_mov_b32 s28, 0xe00740e9
	s_mov_b32 s14, 0x1ea71119
	;; [unrolled: 1-line block ×5, first 2 shown]
	v_add_f64 v[0:1], v[0:1], v[12:13]
	v_add_f64 v[2:3], v[2:3], v[14:15]
	s_mov_b32 s42, 0x93053d00
	s_mov_b32 s29, 0x3fec55a7
	;; [unrolled: 1-line block ×6, first 2 shown]
	v_add_f64 v[0:1], v[0:1], v[4:5]
	v_add_f64 v[2:3], v[2:3], v[6:7]
	s_mov_b32 s43, 0xbfef11f4
	v_mul_f64 v[71:72], v[69:70], s[28:29]
	v_fma_f64 v[77:78], v[53:54], s[14:15], v[75:76]
	v_mul_f64 v[84:85], v[69:70], s[14:15]
	v_fma_f64 v[75:76], v[53:54], s[14:15], -v[75:76]
	v_fma_f64 v[90:91], v[53:54], s[6:7], v[88:89]
	v_add_f64 v[0:1], v[0:1], v[8:9]
	v_add_f64 v[2:3], v[2:3], v[10:11]
	v_mul_f64 v[92:93], v[69:70], s[6:7]
	v_fma_f64 v[88:89], v[53:54], s[6:7], -v[88:89]
	v_fma_f64 v[98:99], v[53:54], s[22:23], v[96:97]
	v_mul_f64 v[100:101], v[69:70], s[22:23]
	v_fma_f64 v[96:97], v[53:54], s[22:23], -v[96:97]
	v_fma_f64 v[106:107], v[53:54], s[36:37], v[104:105]
	v_add_f64 v[0:1], v[0:1], v[16:17]
	v_add_f64 v[2:3], v[2:3], v[18:19]
	v_mul_f64 v[108:109], v[69:70], s[36:37]
	v_fma_f64 v[104:105], v[53:54], s[36:37], -v[104:105]
	v_mul_f64 v[69:70], v[69:70], s[42:43]
	s_mov_b32 s31, 0x3fddbe06
	s_mov_b32 s30, s26
	;; [unrolled: 1-line block ×3, first 2 shown]
	v_add_f64 v[0:1], v[0:1], v[24:25]
	v_add_f64 v[2:3], v[2:3], v[26:27]
	s_mov_b32 s16, s20
	s_mov_b32 s3, 0x3fefc445
	;; [unrolled: 1-line block ×6, first 2 shown]
	v_add_f64 v[0:1], v[0:1], v[32:33]
	v_add_f64 v[2:3], v[2:3], v[34:35]
	s_mov_b32 s38, s34
	s_mov_b32 s45, 0x3fcea1e5
	;; [unrolled: 1-line block ×3, first 2 shown]
	v_fma_f64 v[73:74], v[41:42], s[30:31], v[71:72]
	v_fma_f64 v[71:72], v[41:42], s[26:27], v[71:72]
	v_add_f64 v[77:78], v[37:38], v[77:78]
	v_add_f64 v[0:1], v[0:1], v[49:50]
	;; [unrolled: 1-line block ×3, first 2 shown]
	v_fma_f64 v[86:87], v[41:42], s[16:17], v[84:85]
	v_add_f64 v[75:76], v[37:38], v[75:76]
	v_fma_f64 v[84:85], v[41:42], s[20:21], v[84:85]
	v_add_f64 v[90:91], v[37:38], v[90:91]
	;; [unrolled: 2-line block ×3, first 2 shown]
	v_add_f64 v[0:1], v[0:1], v[65:66]
	v_mul_f64 v[65:66], v[43:44], s[26:27]
	v_mul_f64 v[43:44], v[43:44], s[40:41]
	v_add_f64 v[2:3], v[2:3], v[67:68]
	v_fma_f64 v[92:93], v[41:42], s[8:9], v[92:93]
	v_add_f64 v[98:99], v[37:38], v[98:99]
	v_fma_f64 v[102:103], v[41:42], s[24:25], v[100:101]
	;; [unrolled: 2-line block ×3, first 2 shown]
	v_fma_f64 v[67:68], v[53:54], s[28:29], v[65:66]
	v_fma_f64 v[65:66], v[53:54], s[28:29], -v[65:66]
	v_fma_f64 v[112:113], v[53:54], s[42:43], v[43:44]
	v_fma_f64 v[43:44], v[53:54], s[42:43], -v[43:44]
	v_add_f64 v[106:107], v[37:38], v[106:107]
	v_fma_f64 v[110:111], v[41:42], s[38:39], v[108:109]
	v_add_f64 v[104:105], v[37:38], v[104:105]
	v_fma_f64 v[108:109], v[41:42], s[34:35], v[108:109]
	v_add_f64 v[67:68], v[37:38], v[67:68]
	v_add_f64 v[65:66], v[37:38], v[65:66]
	;; [unrolled: 1-line block ×3, first 2 shown]
	v_fma_f64 v[114:115], v[41:42], s[44:45], v[69:70]
	v_add_f64 v[37:38], v[37:38], v[43:44]
	v_fma_f64 v[41:42], v[41:42], s[40:41], v[69:70]
	v_add_f64 v[43:44], v[47:48], v[51:52]
	v_add_f64 v[47:48], v[47:48], -v[51:52]
	v_add_f64 v[73:74], v[39:40], v[73:74]
	v_add_f64 v[71:72], v[39:40], v[71:72]
	;; [unrolled: 1-line block ×13, first 2 shown]
	v_add_f64 v[45:46], v[45:46], -v[49:50]
	v_mul_f64 v[49:50], v[47:48], s[20:21]
	v_mul_f64 v[53:54], v[43:44], s[14:15]
	s_waitcnt lgkmcnt(0)
	; wave barrier
	v_fma_f64 v[51:52], v[41:42], s[14:15], v[49:50]
	v_fma_f64 v[49:50], v[41:42], s[14:15], -v[49:50]
	v_add_f64 v[51:52], v[51:52], v[67:68]
	v_add_f64 v[49:50], v[49:50], v[65:66]
	v_mul_f64 v[65:66], v[47:48], s[18:19]
	v_fma_f64 v[67:68], v[45:46], s[16:17], v[53:54]
	v_fma_f64 v[53:54], v[45:46], s[20:21], v[53:54]
	v_fma_f64 v[69:70], v[41:42], s[22:23], v[65:66]
	v_fma_f64 v[65:66], v[41:42], s[22:23], -v[65:66]
	v_add_f64 v[53:54], v[53:54], v[71:72]
	v_mul_f64 v[71:72], v[43:44], s[22:23]
	v_add_f64 v[67:68], v[67:68], v[73:74]
	v_add_f64 v[69:70], v[69:70], v[77:78]
	v_add_f64 v[65:66], v[65:66], v[75:76]
	v_mul_f64 v[75:76], v[47:48], s[40:41]
	v_fma_f64 v[73:74], v[45:46], s[24:25], v[71:72]
	v_fma_f64 v[71:72], v[45:46], s[18:19], v[71:72]
	v_fma_f64 v[77:78], v[41:42], s[42:43], v[75:76]
	v_fma_f64 v[75:76], v[41:42], s[42:43], -v[75:76]
	v_add_f64 v[71:72], v[71:72], v[84:85]
	v_mul_f64 v[84:85], v[43:44], s[42:43]
	v_add_f64 v[73:74], v[73:74], v[86:87]
	;; [unrolled: 10-line block ×3, first 2 shown]
	v_add_f64 v[90:91], v[90:91], v[98:99]
	v_add_f64 v[88:89], v[88:89], v[96:97]
	v_mul_f64 v[96:97], v[47:48], s[2:3]
	v_fma_f64 v[94:95], v[45:46], s[34:35], v[92:93]
	v_fma_f64 v[92:93], v[45:46], s[38:39], v[92:93]
	v_mul_f64 v[47:48], v[47:48], s[30:31]
	v_fma_f64 v[98:99], v[41:42], s[6:7], v[96:97]
	v_fma_f64 v[96:97], v[41:42], s[6:7], -v[96:97]
	v_add_f64 v[92:93], v[92:93], v[100:101]
	v_mul_f64 v[100:101], v[43:44], s[6:7]
	v_mul_f64 v[43:44], v[43:44], s[28:29]
	v_add_f64 v[94:95], v[94:95], v[102:103]
	v_add_f64 v[98:99], v[98:99], v[106:107]
	;; [unrolled: 1-line block ×3, first 2 shown]
	v_fma_f64 v[104:105], v[41:42], s[28:29], v[47:48]
	v_fma_f64 v[41:42], v[41:42], s[28:29], -v[47:48]
	v_fma_f64 v[106:107], v[45:46], s[26:27], v[43:44]
	v_fma_f64 v[102:103], v[45:46], s[8:9], v[100:101]
	;; [unrolled: 1-line block ×3, first 2 shown]
	v_add_f64 v[104:105], v[104:105], v[112:113]
	v_add_f64 v[37:38], v[41:42], v[37:38]
	v_fma_f64 v[41:42], v[45:46], s[30:31], v[43:44]
	v_add_f64 v[43:44], v[30:31], v[34:35]
	v_add_f64 v[30:31], v[30:31], -v[34:35]
	v_add_f64 v[100:101], v[100:101], v[108:109]
	v_add_f64 v[102:103], v[102:103], v[110:111]
	;; [unrolled: 1-line block ×5, first 2 shown]
	v_add_f64 v[28:29], v[28:29], -v[32:33]
	v_mul_f64 v[32:33], v[30:31], s[8:9]
	v_mul_f64 v[45:46], v[43:44], s[6:7]
	v_fma_f64 v[34:35], v[41:42], s[6:7], v[32:33]
	v_fma_f64 v[32:33], v[41:42], s[6:7], -v[32:33]
	v_fma_f64 v[47:48], v[28:29], s[2:3], v[45:46]
	v_fma_f64 v[45:46], v[28:29], s[8:9], v[45:46]
	v_add_f64 v[34:35], v[34:35], v[51:52]
	v_add_f64 v[32:33], v[32:33], v[49:50]
	v_mul_f64 v[49:50], v[30:31], s[40:41]
	v_add_f64 v[45:46], v[45:46], v[53:54]
	v_mul_f64 v[53:54], v[43:44], s[42:43]
	v_add_f64 v[47:48], v[47:48], v[67:68]
	v_fma_f64 v[51:52], v[41:42], s[42:43], v[49:50]
	v_fma_f64 v[49:50], v[41:42], s[42:43], -v[49:50]
	v_fma_f64 v[67:68], v[28:29], s[44:45], v[53:54]
	v_fma_f64 v[53:54], v[28:29], s[40:41], v[53:54]
	v_add_f64 v[51:52], v[51:52], v[69:70]
	v_add_f64 v[49:50], v[49:50], v[65:66]
	v_mul_f64 v[65:66], v[30:31], s[24:25]
	v_add_f64 v[53:54], v[53:54], v[71:72]
	v_mul_f64 v[71:72], v[43:44], s[22:23]
	v_add_f64 v[67:68], v[67:68], v[73:74]
	;; [unrolled: 10-line block ×3, first 2 shown]
	v_fma_f64 v[77:78], v[41:42], s[28:29], v[75:76]
	v_fma_f64 v[75:76], v[41:42], s[28:29], -v[75:76]
	v_fma_f64 v[86:87], v[28:29], s[26:27], v[84:85]
	v_fma_f64 v[84:85], v[28:29], s[30:31], v[84:85]
	v_add_f64 v[77:78], v[77:78], v[90:91]
	v_add_f64 v[75:76], v[75:76], v[88:89]
	v_mul_f64 v[88:89], v[30:31], s[20:21]
	v_add_f64 v[84:85], v[84:85], v[92:93]
	v_mul_f64 v[92:93], v[43:44], s[14:15]
	v_mul_f64 v[43:44], v[43:44], s[36:37]
	v_add_f64 v[86:87], v[86:87], v[94:95]
	v_mul_f64 v[30:31], v[30:31], s[34:35]
	v_fma_f64 v[90:91], v[41:42], s[14:15], v[88:89]
	v_fma_f64 v[88:89], v[41:42], s[14:15], -v[88:89]
	v_fma_f64 v[94:95], v[28:29], s[16:17], v[92:93]
	v_fma_f64 v[92:93], v[28:29], s[20:21], v[92:93]
	v_add_f64 v[90:91], v[90:91], v[98:99]
	v_fma_f64 v[98:99], v[28:29], s[38:39], v[43:44]
	v_fma_f64 v[28:29], v[28:29], s[34:35], v[43:44]
	v_add_f64 v[88:89], v[88:89], v[96:97]
	v_fma_f64 v[96:97], v[41:42], s[36:37], v[30:31]
	v_fma_f64 v[30:31], v[41:42], s[36:37], -v[30:31]
	v_add_f64 v[92:93], v[92:93], v[100:101]
	v_add_f64 v[94:95], v[94:95], v[102:103]
	;; [unrolled: 1-line block ×5, first 2 shown]
	v_add_f64 v[22:23], v[22:23], -v[26:27]
	v_add_f64 v[30:31], v[30:31], v[37:38]
	v_add_f64 v[37:38], v[20:21], v[24:25]
	v_add_f64 v[20:21], v[20:21], -v[24:25]
	v_add_f64 v[96:97], v[96:97], v[104:105]
	v_add_f64 v[104:105], v[12:13], v[16:17]
	v_add_f64 v[106:107], v[12:13], -v[16:17]
	v_mul_f64 v[24:25], v[22:23], s[18:19]
	v_fma_f64 v[26:27], v[37:38], s[22:23], v[24:25]
	v_fma_f64 v[24:25], v[37:38], s[22:23], -v[24:25]
	v_add_f64 v[26:27], v[26:27], v[34:35]
	v_mul_f64 v[34:35], v[39:40], s[22:23]
	v_add_f64 v[24:25], v[24:25], v[32:33]
	v_fma_f64 v[32:33], v[20:21], s[18:19], v[34:35]
	v_fma_f64 v[41:42], v[20:21], s[24:25], v[34:35]
	v_mul_f64 v[34:35], v[22:23], s[38:39]
	v_add_f64 v[32:33], v[32:33], v[45:46]
	v_mul_f64 v[45:46], v[39:40], s[36:37]
	v_add_f64 v[41:42], v[41:42], v[47:48]
	v_fma_f64 v[43:44], v[37:38], s[36:37], v[34:35]
	v_fma_f64 v[34:35], v[37:38], s[36:37], -v[34:35]
	v_fma_f64 v[47:48], v[20:21], s[34:35], v[45:46]
	v_fma_f64 v[45:46], v[20:21], s[38:39], v[45:46]
	v_add_f64 v[43:44], v[43:44], v[51:52]
	v_add_f64 v[34:35], v[34:35], v[49:50]
	v_mul_f64 v[49:50], v[22:23], s[30:31]
	v_add_f64 v[47:48], v[47:48], v[67:68]
	v_add_f64 v[45:46], v[45:46], v[53:54]
	v_mul_f64 v[53:54], v[39:40], s[28:29]
	v_fma_f64 v[51:52], v[37:38], s[28:29], v[49:50]
	v_fma_f64 v[49:50], v[37:38], s[28:29], -v[49:50]
	v_fma_f64 v[67:68], v[20:21], s[26:27], v[53:54]
	v_fma_f64 v[53:54], v[20:21], s[30:31], v[53:54]
	v_add_f64 v[51:52], v[51:52], v[69:70]
	v_add_f64 v[49:50], v[49:50], v[65:66]
	;; [unrolled: 1-line block ×4, first 2 shown]
	v_mul_f64 v[53:54], v[22:23], s[8:9]
	v_fma_f64 v[67:68], v[37:38], s[6:7], v[53:54]
	v_fma_f64 v[53:54], v[37:38], s[6:7], -v[53:54]
	v_add_f64 v[77:78], v[67:68], v[77:78]
	v_mul_f64 v[67:68], v[39:40], s[6:7]
	v_add_f64 v[102:103], v[53:54], v[75:76]
	v_fma_f64 v[53:54], v[20:21], s[8:9], v[67:68]
	v_fma_f64 v[69:70], v[20:21], s[2:3], v[67:68]
	v_add_f64 v[84:85], v[53:54], v[84:85]
	v_mul_f64 v[53:54], v[22:23], s[44:45]
	v_mul_f64 v[22:23], v[22:23], s[16:17]
	v_add_f64 v[86:87], v[69:70], v[86:87]
	v_fma_f64 v[67:68], v[37:38], s[42:43], v[53:54]
	v_fma_f64 v[53:54], v[37:38], s[42:43], -v[53:54]
	v_add_f64 v[90:91], v[67:68], v[90:91]
	v_mul_f64 v[67:68], v[39:40], s[42:43]
	v_add_f64 v[88:89], v[53:54], v[88:89]
	v_mul_f64 v[39:40], v[39:40], s[14:15]
	v_fma_f64 v[53:54], v[20:21], s[44:45], v[67:68]
	v_fma_f64 v[69:70], v[20:21], s[40:41], v[67:68]
	v_add_f64 v[92:93], v[53:54], v[92:93]
	v_fma_f64 v[53:54], v[37:38], s[14:15], v[22:23]
	v_fma_f64 v[22:23], v[37:38], s[14:15], -v[22:23]
	v_add_f64 v[94:95], v[69:70], v[94:95]
	v_add_f64 v[96:97], v[53:54], v[96:97]
	;; [unrolled: 1-line block ×3, first 2 shown]
	v_add_f64 v[30:31], v[14:15], -v[18:19]
	v_fma_f64 v[53:54], v[20:21], s[20:21], v[39:40]
	v_fma_f64 v[20:21], v[20:21], s[16:17], v[39:40]
	v_mul_f64 v[12:13], v[30:31], s[34:35]
	v_add_f64 v[98:99], v[53:54], v[98:99]
	v_add_f64 v[20:21], v[20:21], v[28:29]
	;; [unrolled: 1-line block ×3, first 2 shown]
	v_fma_f64 v[14:15], v[104:105], s[36:37], v[12:13]
	v_fma_f64 v[12:13], v[104:105], s[36:37], -v[12:13]
	v_add_f64 v[18:19], v[14:15], v[26:27]
	v_mul_f64 v[14:15], v[28:29], s[36:37]
	v_add_f64 v[73:74], v[12:13], v[24:25]
	v_mul_f64 v[24:25], v[28:29], s[6:7]
	v_fma_f64 v[16:17], v[106:107], s[38:39], v[14:15]
	v_fma_f64 v[12:13], v[106:107], s[34:35], v[14:15]
	v_mul_f64 v[14:15], v[30:31], s[2:3]
	v_add_f64 v[71:72], v[16:17], v[41:42]
	v_add_f64 v[75:76], v[12:13], v[32:33]
	v_fma_f64 v[12:13], v[104:105], s[6:7], v[14:15]
	v_fma_f64 v[14:15], v[104:105], s[6:7], -v[14:15]
	v_add_f64 v[16:17], v[12:13], v[43:44]
	v_fma_f64 v[12:13], v[106:107], s[8:9], v[24:25]
	v_fma_f64 v[24:25], v[106:107], s[2:3], v[24:25]
	v_add_f64 v[14:15], v[14:15], v[34:35]
	v_add_f64 v[12:13], v[12:13], v[47:48]
	;; [unrolled: 1-line block ×3, first 2 shown]
	v_mul_f64 v[24:25], v[30:31], s[20:21]
	v_fma_f64 v[26:27], v[104:105], s[14:15], v[24:25]
	v_fma_f64 v[24:25], v[104:105], s[14:15], -v[24:25]
	v_add_f64 v[67:68], v[26:27], v[51:52]
	v_mul_f64 v[26:27], v[28:29], s[14:15]
	v_add_f64 v[53:54], v[24:25], v[49:50]
	v_fma_f64 v[24:25], v[106:107], s[20:21], v[26:27]
	v_fma_f64 v[32:33], v[106:107], s[16:17], v[26:27]
	v_add_f64 v[65:66], v[24:25], v[65:66]
	v_mul_f64 v[24:25], v[30:31], s[44:45]
	v_add_f64 v[51:52], v[32:33], v[100:101]
	v_fma_f64 v[26:27], v[104:105], s[42:43], v[24:25]
	v_fma_f64 v[24:25], v[104:105], s[42:43], -v[24:25]
	v_add_f64 v[49:50], v[26:27], v[77:78]
	v_mul_f64 v[26:27], v[28:29], s[42:43]
	v_add_f64 v[45:46], v[24:25], v[102:103]
	v_add_f64 v[77:78], v[6:7], -v[10:11]
	v_fma_f64 v[24:25], v[106:107], s[44:45], v[26:27]
	v_fma_f64 v[32:33], v[106:107], s[40:41], v[26:27]
	v_add_f64 v[43:44], v[24:25], v[84:85]
	v_mul_f64 v[24:25], v[30:31], s[30:31]
	v_add_f64 v[47:48], v[32:33], v[86:87]
	v_fma_f64 v[26:27], v[104:105], s[28:29], v[24:25]
	v_fma_f64 v[24:25], v[104:105], s[28:29], -v[24:25]
	v_add_f64 v[34:35], v[26:27], v[90:91]
	v_mul_f64 v[26:27], v[28:29], s[28:29]
	v_add_f64 v[39:40], v[24:25], v[88:89]
	v_fma_f64 v[24:25], v[106:107], s[30:31], v[26:27]
	v_fma_f64 v[32:33], v[106:107], s[26:27], v[26:27]
	v_add_f64 v[41:42], v[24:25], v[92:93]
	v_mul_f64 v[24:25], v[30:31], s[18:19]
	v_add_f64 v[37:38], v[32:33], v[94:95]
	v_add_f64 v[32:33], v[6:7], v[10:11]
	v_fma_f64 v[26:27], v[104:105], s[22:23], v[24:25]
	v_fma_f64 v[24:25], v[104:105], s[22:23], -v[24:25]
	v_add_f64 v[30:31], v[26:27], v[96:97]
	v_mul_f64 v[26:27], v[28:29], s[22:23]
	v_add_f64 v[24:25], v[24:25], v[22:23]
	v_fma_f64 v[22:23], v[106:107], s[18:19], v[26:27]
	v_fma_f64 v[28:29], v[106:107], s[24:25], v[26:27]
	v_add_f64 v[26:27], v[4:5], v[8:9]
	v_add_f64 v[20:21], v[22:23], v[20:21]
	v_add_f64 v[22:23], v[4:5], -v[8:9]
	v_mul_f64 v[4:5], v[77:78], s[40:41]
	v_add_f64 v[28:29], v[28:29], v[98:99]
	v_fma_f64 v[6:7], v[26:27], s[42:43], v[4:5]
	v_fma_f64 v[4:5], v[26:27], s[42:43], -v[4:5]
	v_add_f64 v[8:9], v[6:7], v[18:19]
	v_mul_f64 v[6:7], v[32:33], s[42:43]
	v_add_f64 v[4:5], v[4:5], v[73:74]
	v_mul_f64 v[73:74], v[32:33], s[28:29]
	v_fma_f64 v[10:11], v[22:23], s[44:45], v[6:7]
	v_fma_f64 v[6:7], v[22:23], s[40:41], v[6:7]
	v_add_f64 v[10:11], v[10:11], v[71:72]
	v_mul_f64 v[71:72], v[77:78], s[30:31]
	v_add_f64 v[6:7], v[6:7], v[75:76]
	v_fma_f64 v[18:19], v[26:27], s[28:29], v[71:72]
	v_add_f64 v[16:17], v[18:19], v[16:17]
	v_fma_f64 v[18:19], v[22:23], s[26:27], v[73:74]
	v_add_f64 v[18:19], v[18:19], v[12:13]
	v_fma_f64 v[12:13], v[26:27], s[28:29], -v[71:72]
	v_mul_f64 v[71:72], v[77:78], s[34:35]
	v_add_f64 v[12:13], v[12:13], v[14:15]
	v_fma_f64 v[14:15], v[22:23], s[30:31], v[73:74]
	v_mul_f64 v[73:74], v[32:33], s[36:37]
	v_add_f64 v[14:15], v[14:15], v[69:70]
	v_fma_f64 v[69:70], v[26:27], s[36:37], v[71:72]
	v_add_f64 v[67:68], v[69:70], v[67:68]
	v_fma_f64 v[69:70], v[22:23], s[38:39], v[73:74]
	v_add_f64 v[69:70], v[69:70], v[51:52]
	v_fma_f64 v[51:52], v[26:27], s[36:37], -v[71:72]
	v_add_f64 v[51:52], v[51:52], v[53:54]
	v_fma_f64 v[53:54], v[22:23], s[34:35], v[73:74]
	v_add_f64 v[53:54], v[53:54], v[65:66]
	v_mul_f64 v[65:66], v[77:78], s[16:17]
	v_fma_f64 v[71:72], v[26:27], s[14:15], v[65:66]
	v_add_f64 v[71:72], v[71:72], v[49:50]
	v_mul_f64 v[49:50], v[32:33], s[14:15]
	v_fma_f64 v[73:74], v[22:23], s[20:21], v[49:50]
	v_add_f64 v[73:74], v[73:74], v[47:48]
	v_fma_f64 v[47:48], v[26:27], s[14:15], -v[65:66]
	v_mov_b32_e32 v65, 0
	v_mov_b32_e32 v66, 0
	v_add_f64 v[45:46], v[47:48], v[45:46]
	v_fma_f64 v[47:48], v[22:23], s[16:17], v[49:50]
	v_add_f64 v[47:48], v[47:48], v[43:44]
	v_mul_f64 v[43:44], v[77:78], s[18:19]
	v_fma_f64 v[49:50], v[26:27], s[22:23], v[43:44]
	v_add_f64 v[84:85], v[49:50], v[34:35]
	v_mul_f64 v[34:35], v[32:33], s[22:23]
	v_fma_f64 v[49:50], v[22:23], s[24:25], v[34:35]
	v_fma_f64 v[34:35], v[22:23], s[18:19], v[34:35]
	v_add_f64 v[86:87], v[49:50], v[37:38]
	v_fma_f64 v[37:38], v[26:27], s[22:23], -v[43:44]
	v_add_f64 v[37:38], v[37:38], v[39:40]
	v_add_f64 v[39:40], v[34:35], v[41:42]
	v_mul_f64 v[34:35], v[77:78], s[2:3]
	v_fma_f64 v[41:42], v[26:27], s[6:7], v[34:35]
	v_fma_f64 v[26:27], v[26:27], s[6:7], -v[34:35]
	v_add_f64 v[30:31], v[41:42], v[30:31]
	v_mul_f64 v[41:42], v[32:33], s[6:7]
	v_add_f64 v[24:25], v[26:27], v[24:25]
	v_fma_f64 v[32:33], v[22:23], s[8:9], v[41:42]
	v_fma_f64 v[22:23], v[22:23], s[2:3], v[41:42]
	v_add_f64 v[32:33], v[32:33], v[28:29]
	v_add_f64 v[26:27], v[22:23], v[20:21]
	v_mul_u32_u24_e32 v20, 0xd0, v36
	v_add3_u32 v20, 0, v20, v55
	ds_write_b128 v20, v[0:3]
	ds_write_b128 v20, v[8:11] offset:16
	ds_write_b128 v20, v[16:19] offset:32
	;; [unrolled: 1-line block ×12, first 2 shown]
	s_waitcnt lgkmcnt(0)
	; wave barrier
	s_waitcnt lgkmcnt(0)
	ds_read_b128 v[8:11], v81
	ds_read_b128 v[32:35], v82 offset:208
	ds_read_b128 v[16:19], v82 offset:32
	;; [unrolled: 1-line block ×11, first 2 shown]
                                        ; implicit-def: $vgpr2_vgpr3
	s_and_saveexec_b64 s[2:3], s[0:1]
	s_cbranch_execz .LBB0_23
; %bb.22:
	ds_read_b128 v[4:7], v79 offset:192
	ds_read_b128 v[0:3], v79 offset:400
	v_mov_b32_e32 v65, 12
	v_mov_b32_e32 v66, 0
.LBB0_23:
	s_or_b64 exec, exec, s[2:3]
	v_mov_b32_e32 v70, s13
	v_add_co_u32_e64 v61, s[2:3], s12, v61
	v_addc_co_u32_e64 v62, s[2:3], v70, v62, s[2:3]
	global_load_dwordx4 v[66:69], v[61:62], off
	v_add_co_u32_e64 v92, s[2:3], s12, v63
	v_addc_co_u32_e64 v93, s[2:3], v70, v64, s[2:3]
	global_load_dwordx4 v[61:64], v[92:93], off offset:32
	global_load_dwordx4 v[70:73], v[92:93], off offset:64
	;; [unrolled: 1-line block ×5, first 2 shown]
	v_lshl_add_u32 v78, v80, 4, v83
	s_waitcnt lgkmcnt(0)
	; wave barrier
	s_waitcnt vmcnt(5) lgkmcnt(0)
	v_mul_f64 v[80:81], v[34:35], v[68:69]
	v_mul_f64 v[68:69], v[32:33], v[68:69]
	s_waitcnt vmcnt(4)
	v_mul_f64 v[92:93], v[42:43], v[63:64]
	v_mul_f64 v[63:64], v[40:41], v[63:64]
	s_waitcnt vmcnt(3)
	;; [unrolled: 3-line block ×5, first 2 shown]
	v_mul_f64 v[100:101], v[54:55], v[90:91]
	v_mul_f64 v[90:91], v[52:53], v[90:91]
	v_fma_f64 v[32:33], v[32:33], v[66:67], v[80:81]
	v_fma_f64 v[34:35], v[34:35], v[66:67], -v[68:69]
	v_fma_f64 v[40:41], v[40:41], v[61:62], v[92:93]
	v_fma_f64 v[42:43], v[42:43], v[61:62], -v[63:64]
	;; [unrolled: 2-line block ×6, first 2 shown]
	v_add_f64 v[32:33], v[8:9], -v[32:33]
	v_add_f64 v[34:35], v[10:11], -v[34:35]
	;; [unrolled: 1-line block ×12, first 2 shown]
	v_fma_f64 v[8:9], v[8:9], 2.0, -v[32:33]
	v_fma_f64 v[10:11], v[10:11], 2.0, -v[34:35]
	;; [unrolled: 1-line block ×12, first 2 shown]
	ds_write_b128 v82, v[32:35] offset:208
	ds_write_b128 v78, v[36:39] offset:240
	;; [unrolled: 1-line block ×5, first 2 shown]
	ds_write_b128 v82, v[8:11]
	ds_write_b128 v82, v[16:19] offset:32
	ds_write_b128 v82, v[12:15] offset:64
	;; [unrolled: 1-line block ×6, first 2 shown]
	s_and_saveexec_b64 s[2:3], s[0:1]
	s_cbranch_execz .LBB0_25
; %bb.24:
	v_lshlrev_b32_e32 v8, 4, v65
	global_load_dwordx4 v[8:11], v8, s[12:13]
	s_waitcnt vmcnt(0)
	v_mul_f64 v[12:13], v[0:1], v[10:11]
	v_mul_f64 v[10:11], v[2:3], v[10:11]
	v_fma_f64 v[2:3], v[2:3], v[8:9], -v[12:13]
	v_fma_f64 v[0:1], v[0:1], v[8:9], v[10:11]
	v_add_f64 v[2:3], v[6:7], -v[2:3]
	v_add_f64 v[0:1], v[4:5], -v[0:1]
	v_fma_f64 v[6:7], v[6:7], 2.0, -v[2:3]
	v_fma_f64 v[4:5], v[4:5], 2.0, -v[0:1]
	ds_write_b128 v79, v[4:7] offset:192
	ds_write_b128 v79, v[0:3] offset:400
.LBB0_25:
	s_or_b64 exec, exec, s[2:3]
	s_waitcnt lgkmcnt(0)
	; wave barrier
	s_waitcnt lgkmcnt(0)
	s_and_saveexec_b64 s[0:1], vcc
	s_cbranch_execz .LBB0_27
; %bb.26:
	v_mul_lo_u32 v2, s5, v58
	v_mul_lo_u32 v3, s4, v59
	v_mad_u64_u32 v[0:1], s[0:1], s4, v58, 0
	v_lshl_add_u32 v10, v60, 4, v79
	v_mov_b32_e32 v61, 0
	v_add3_u32 v1, v1, v3, v2
	v_lshlrev_b64 v[0:1], 4, v[0:1]
	v_mov_b32_e32 v2, s11
	v_add_co_u32_e32 v3, vcc, s10, v0
	v_addc_co_u32_e32 v2, vcc, v2, v1, vcc
	v_lshlrev_b64 v[0:1], 4, v[56:57]
	v_lshlrev_b64 v[4:5], 4, v[60:61]
	v_add_co_u32_e32 v11, vcc, v3, v0
	v_addc_co_u32_e32 v12, vcc, v2, v1, vcc
	ds_read_b128 v[0:3], v10
	v_add_co_u32_e32 v8, vcc, v11, v4
	v_addc_co_u32_e32 v9, vcc, v12, v5, vcc
	ds_read_b128 v[4:7], v10 offset:32
	s_waitcnt lgkmcnt(1)
	global_store_dwordx4 v[8:9], v[0:3], off
	s_nop 0
	v_add_u32_e32 v0, 2, v60
	v_mov_b32_e32 v1, v61
	v_lshlrev_b64 v[0:1], 4, v[0:1]
	v_add_co_u32_e32 v0, vcc, v11, v0
	v_addc_co_u32_e32 v1, vcc, v12, v1, vcc
	s_waitcnt lgkmcnt(0)
	global_store_dwordx4 v[0:1], v[4:7], off
	ds_read_b128 v[0:3], v10 offset:64
	v_add_u32_e32 v4, 4, v60
	v_mov_b32_e32 v5, v61
	v_lshlrev_b64 v[4:5], 4, v[4:5]
	v_add_co_u32_e32 v8, vcc, v11, v4
	v_addc_co_u32_e32 v9, vcc, v12, v5, vcc
	ds_read_b128 v[4:7], v10 offset:96
	s_waitcnt lgkmcnt(1)
	global_store_dwordx4 v[8:9], v[0:3], off
	s_nop 0
	v_add_u32_e32 v0, 6, v60
	v_mov_b32_e32 v1, v61
	v_lshlrev_b64 v[0:1], 4, v[0:1]
	v_add_co_u32_e32 v0, vcc, v11, v0
	v_addc_co_u32_e32 v1, vcc, v12, v1, vcc
	s_waitcnt lgkmcnt(0)
	global_store_dwordx4 v[0:1], v[4:7], off
	ds_read_b128 v[0:3], v10 offset:128
	v_add_u32_e32 v4, 8, v60
	v_mov_b32_e32 v5, v61
	v_lshlrev_b64 v[4:5], 4, v[4:5]
	;; [unrolled: 17-line block ×4, first 2 shown]
	v_add_co_u32_e32 v8, vcc, v11, v4
	v_addc_co_u32_e32 v9, vcc, v12, v5, vcc
	ds_read_b128 v[4:7], v10 offset:288
	s_waitcnt lgkmcnt(1)
	global_store_dwordx4 v[8:9], v[0:3], off
	s_nop 0
	v_add_u32_e32 v0, 18, v60
	v_mov_b32_e32 v1, v61
	v_lshlrev_b64 v[0:1], 4, v[0:1]
	v_add_co_u32_e32 v8, vcc, v11, v0
	v_addc_co_u32_e32 v9, vcc, v12, v1, vcc
	ds_read_b128 v[0:3], v10 offset:320
	s_waitcnt lgkmcnt(1)
	global_store_dwordx4 v[8:9], v[4:7], off
	s_nop 0
	v_add_u32_e32 v4, 20, v60
	v_mov_b32_e32 v5, v61
	v_lshlrev_b64 v[4:5], 4, v[4:5]
	;; [unrolled: 9-line block ×3, first 2 shown]
	v_add_u32_e32 v60, 24, v60
	v_add_co_u32_e32 v0, vcc, v11, v0
	v_addc_co_u32_e32 v1, vcc, v12, v1, vcc
	s_waitcnt lgkmcnt(0)
	global_store_dwordx4 v[0:1], v[4:7], off
	ds_read_b128 v[0:3], v10 offset:384
	v_lshlrev_b64 v[4:5], 4, v[60:61]
	v_add_co_u32_e32 v4, vcc, v11, v4
	v_addc_co_u32_e32 v5, vcc, v12, v5, vcc
	s_waitcnt lgkmcnt(0)
	global_store_dwordx4 v[4:5], v[0:3], off
.LBB0_27:
	s_endpgm
	.section	.rodata,"a",@progbits
	.p2align	6, 0x0
	.amdhsa_kernel fft_rtc_back_len26_factors_13_2_wgs_64_tpt_2_halfLds_dp_op_CI_CI_unitstride_sbrr_C2R_dirReg
		.amdhsa_group_segment_fixed_size 0
		.amdhsa_private_segment_fixed_size 0
		.amdhsa_kernarg_size 104
		.amdhsa_user_sgpr_count 6
		.amdhsa_user_sgpr_private_segment_buffer 1
		.amdhsa_user_sgpr_dispatch_ptr 0
		.amdhsa_user_sgpr_queue_ptr 0
		.amdhsa_user_sgpr_kernarg_segment_ptr 1
		.amdhsa_user_sgpr_dispatch_id 0
		.amdhsa_user_sgpr_flat_scratch_init 0
		.amdhsa_user_sgpr_private_segment_size 0
		.amdhsa_uses_dynamic_stack 0
		.amdhsa_system_sgpr_private_segment_wavefront_offset 0
		.amdhsa_system_sgpr_workgroup_id_x 1
		.amdhsa_system_sgpr_workgroup_id_y 0
		.amdhsa_system_sgpr_workgroup_id_z 0
		.amdhsa_system_sgpr_workgroup_info 0
		.amdhsa_system_vgpr_workitem_id 0
		.amdhsa_next_free_vgpr 116
		.amdhsa_next_free_sgpr 46
		.amdhsa_reserve_vcc 1
		.amdhsa_reserve_flat_scratch 0
		.amdhsa_float_round_mode_32 0
		.amdhsa_float_round_mode_16_64 0
		.amdhsa_float_denorm_mode_32 3
		.amdhsa_float_denorm_mode_16_64 3
		.amdhsa_dx10_clamp 1
		.amdhsa_ieee_mode 1
		.amdhsa_fp16_overflow 0
		.amdhsa_exception_fp_ieee_invalid_op 0
		.amdhsa_exception_fp_denorm_src 0
		.amdhsa_exception_fp_ieee_div_zero 0
		.amdhsa_exception_fp_ieee_overflow 0
		.amdhsa_exception_fp_ieee_underflow 0
		.amdhsa_exception_fp_ieee_inexact 0
		.amdhsa_exception_int_div_zero 0
	.end_amdhsa_kernel
	.text
.Lfunc_end0:
	.size	fft_rtc_back_len26_factors_13_2_wgs_64_tpt_2_halfLds_dp_op_CI_CI_unitstride_sbrr_C2R_dirReg, .Lfunc_end0-fft_rtc_back_len26_factors_13_2_wgs_64_tpt_2_halfLds_dp_op_CI_CI_unitstride_sbrr_C2R_dirReg
                                        ; -- End function
	.section	.AMDGPU.csdata,"",@progbits
; Kernel info:
; codeLenInByte = 8200
; NumSgprs: 50
; NumVgprs: 116
; ScratchSize: 0
; MemoryBound: 0
; FloatMode: 240
; IeeeMode: 1
; LDSByteSize: 0 bytes/workgroup (compile time only)
; SGPRBlocks: 6
; VGPRBlocks: 28
; NumSGPRsForWavesPerEU: 50
; NumVGPRsForWavesPerEU: 116
; Occupancy: 2
; WaveLimiterHint : 1
; COMPUTE_PGM_RSRC2:SCRATCH_EN: 0
; COMPUTE_PGM_RSRC2:USER_SGPR: 6
; COMPUTE_PGM_RSRC2:TRAP_HANDLER: 0
; COMPUTE_PGM_RSRC2:TGID_X_EN: 1
; COMPUTE_PGM_RSRC2:TGID_Y_EN: 0
; COMPUTE_PGM_RSRC2:TGID_Z_EN: 0
; COMPUTE_PGM_RSRC2:TIDIG_COMP_CNT: 0
	.type	__hip_cuid_da2c28551e667aa6,@object ; @__hip_cuid_da2c28551e667aa6
	.section	.bss,"aw",@nobits
	.globl	__hip_cuid_da2c28551e667aa6
__hip_cuid_da2c28551e667aa6:
	.byte	0                               ; 0x0
	.size	__hip_cuid_da2c28551e667aa6, 1

	.ident	"AMD clang version 19.0.0git (https://github.com/RadeonOpenCompute/llvm-project roc-6.4.0 25133 c7fe45cf4b819c5991fe208aaa96edf142730f1d)"
	.section	".note.GNU-stack","",@progbits
	.addrsig
	.addrsig_sym __hip_cuid_da2c28551e667aa6
	.amdgpu_metadata
---
amdhsa.kernels:
  - .args:
      - .actual_access:  read_only
        .address_space:  global
        .offset:         0
        .size:           8
        .value_kind:     global_buffer
      - .offset:         8
        .size:           8
        .value_kind:     by_value
      - .actual_access:  read_only
        .address_space:  global
        .offset:         16
        .size:           8
        .value_kind:     global_buffer
      - .actual_access:  read_only
        .address_space:  global
        .offset:         24
        .size:           8
        .value_kind:     global_buffer
      - .actual_access:  read_only
        .address_space:  global
        .offset:         32
        .size:           8
        .value_kind:     global_buffer
      - .offset:         40
        .size:           8
        .value_kind:     by_value
      - .actual_access:  read_only
        .address_space:  global
        .offset:         48
        .size:           8
        .value_kind:     global_buffer
      - .actual_access:  read_only
        .address_space:  global
        .offset:         56
        .size:           8
        .value_kind:     global_buffer
      - .offset:         64
        .size:           4
        .value_kind:     by_value
      - .actual_access:  read_only
        .address_space:  global
        .offset:         72
        .size:           8
        .value_kind:     global_buffer
      - .actual_access:  read_only
        .address_space:  global
        .offset:         80
        .size:           8
        .value_kind:     global_buffer
      - .actual_access:  read_only
        .address_space:  global
        .offset:         88
        .size:           8
        .value_kind:     global_buffer
      - .actual_access:  write_only
        .address_space:  global
        .offset:         96
        .size:           8
        .value_kind:     global_buffer
    .group_segment_fixed_size: 0
    .kernarg_segment_align: 8
    .kernarg_segment_size: 104
    .language:       OpenCL C
    .language_version:
      - 2
      - 0
    .max_flat_workgroup_size: 64
    .name:           fft_rtc_back_len26_factors_13_2_wgs_64_tpt_2_halfLds_dp_op_CI_CI_unitstride_sbrr_C2R_dirReg
    .private_segment_fixed_size: 0
    .sgpr_count:     50
    .sgpr_spill_count: 0
    .symbol:         fft_rtc_back_len26_factors_13_2_wgs_64_tpt_2_halfLds_dp_op_CI_CI_unitstride_sbrr_C2R_dirReg.kd
    .uniform_work_group_size: 1
    .uses_dynamic_stack: false
    .vgpr_count:     116
    .vgpr_spill_count: 0
    .wavefront_size: 64
amdhsa.target:   amdgcn-amd-amdhsa--gfx906
amdhsa.version:
  - 1
  - 2
...

	.end_amdgpu_metadata
